;; amdgpu-corpus repo=llvm/llvm-project kind=harvested arch=n/a opt=n/a
// RUN: not llvm-mc -triple=amdgcn -mcpu=gfx942 %s -filetype=null 2>&1 | FileCheck %s --implicit-check-not=error: --strict-whitespace

//==============================================================================
// instruction must not use sc0

global_atomic_or v[0:1], v2, off sc1 nt sc0
// CHECK: :[[@LINE-1]]:{{[0-9]+}}: error: instruction must not use sc0
// CHECK-NEXT:{{^}}global_atomic_or v[0:1], v2, off sc1 nt sc0
// CHECK-NEXT:{{^}}                                        ^

global_atomic_or v[0:1], v2, off sc0 sc1 nt
// CHECK: :[[@LINE-1]]:{{[0-9]+}}: error: instruction must not use sc0
// CHECK-NEXT:{{^}}global_atomic_or v[0:1], v2, off sc0 sc1 nt
// CHECK-NEXT:{{^}}                                 ^
